;; amdgpu-corpus repo=ROCm/rocFFT kind=compiled arch=gfx1100 opt=O3
	.text
	.amdgcn_target "amdgcn-amd-amdhsa--gfx1100"
	.amdhsa_code_object_version 6
	.protected	fft_rtc_back_len343_factors_7_7_7_wgs_245_tpt_49_sp_op_CI_CI_sbrc_xy_z_diag_dirReg ; -- Begin function fft_rtc_back_len343_factors_7_7_7_wgs_245_tpt_49_sp_op_CI_CI_sbrc_xy_z_diag_dirReg
	.globl	fft_rtc_back_len343_factors_7_7_7_wgs_245_tpt_49_sp_op_CI_CI_sbrc_xy_z_diag_dirReg
	.p2align	8
	.type	fft_rtc_back_len343_factors_7_7_7_wgs_245_tpt_49_sp_op_CI_CI_sbrc_xy_z_diag_dirReg,@function
fft_rtc_back_len343_factors_7_7_7_wgs_245_tpt_49_sp_op_CI_CI_sbrc_xy_z_diag_dirReg: ; @fft_rtc_back_len343_factors_7_7_7_wgs_245_tpt_49_sp_op_CI_CI_sbrc_xy_z_diag_dirReg
; %bb.0:
	s_load_b256 s[4:11], s[0:1], 0x0
	v_add_nc_u16 v1, v0, 0xf5
	v_add_nc_u16 v3, v0, 0x1ea
	;; [unrolled: 1-line block ×5, first 2 shown]
	v_and_b32_e32 v8, 0xffff, v1
	v_and_b32_e32 v10, 0xffff, v3
	v_add_nc_u16 v7, v0, 0x5be
	v_dual_mov_b32 v2, 0 :: v_dual_and_b32 v11, 0xffff, v4
	s_delay_alu instid0(VALU_DEP_4) | instskip(NEXT) | instid1(VALU_DEP_4)
	v_mul_u32_u24_e32 v8, 0x17f, v8
	v_mul_u32_u24_e32 v10, 0x2fd, v10
	v_and_b32_e32 v12, 0xffff, v5
	v_and_b32_e32 v13, 0xffff, v6
	;; [unrolled: 1-line block ×3, first 2 shown]
	v_lshrrev_b32_e32 v28, 17, v8
	v_lshrrev_b32_e32 v29, 18, v10
	v_mul_u32_u24_e32 v11, 0x2fd, v11
	v_mul_u32_u24_e32 v12, 0x5f9, v12
	s_waitcnt lgkmcnt(0)
	s_load_b128 s[20:23], s[8:9], 0x8
	s_clause 0x1
	s_load_b128 s[16:19], s[0:1], 0x58
	s_load_b64 s[12:13], s[0:1], 0x20
	v_mul_u32_u24_e32 v13, 0x5f9, v13
	v_mul_u32_u24_e32 v14, 0x5f9, v14
	v_mul_lo_u16 v10, 0x157, v29
	v_lshrrev_b32_e32 v30, 18, v11
	v_lshrrev_b32_e32 v31, 19, v12
	v_lshrrev_b32_e32 v32, 19, v13
	v_lshrrev_b32_e32 v33, 19, v14
	v_sub_nc_u16 v35, v3, v10
	s_mov_b32 s9, 0
	v_mul_lo_u16 v11, 0x157, v31
	v_mul_lo_u16 v12, 0x157, v32
	;; [unrolled: 1-line block ×3, first 2 shown]
	v_and_b32_e32 v23, 0xffff, v35
	s_delay_alu instid0(VALU_DEP_4) | instskip(NEXT) | instid1(VALU_DEP_4)
	v_sub_nc_u16 v37, v5, v11
	v_sub_nc_u16 v38, v6, v12
	s_delay_alu instid0(VALU_DEP_4) | instskip(SKIP_2) | instid1(VALU_DEP_2)
	v_sub_nc_u16 v39, v7, v13
	s_waitcnt lgkmcnt(0)
	s_add_i32 s0, s22, -1
	v_and_b32_e32 v40, 0xffff, v38
	s_mul_hi_u32 s0, s0, 0xcccccccd
	s_delay_alu instid0(SALU_CYCLE_1) | instskip(NEXT) | instid1(SALU_CYCLE_1)
	s_lshr_b32 s0, s0, 2
	s_add_i32 s0, s0, 1
	s_delay_alu instid0(SALU_CYCLE_1)
	s_mul_i32 s8, s0, s20
	s_clause 0x1
	s_load_b128 s[0:3], s[10:11], 0x0
	s_load_b32 s21, s[10:11], 0x10
	v_cvt_f32_u32_e32 v9, s8
	s_sub_i32 s14, 0, s8
	s_delay_alu instid0(VALU_DEP_1)
	v_rcp_iflag_f32_e32 v9, v9
	s_waitcnt_depctr 0xfff
	v_mul_f32_e32 v8, 0x4f7ffffe, v9
	v_mul_lo_u16 v9, 0x157, v28
	s_waitcnt lgkmcnt(0)
	v_mad_u64_u32 v[13:14], null, s0, v40, 0
	s_delay_alu instid0(VALU_DEP_3) | instskip(NEXT) | instid1(VALU_DEP_3)
	v_cvt_u32_f32_e32 v8, v8
	v_sub_nc_u16 v34, v1, v9
	v_mul_lo_u32 v1, s21, v28
	s_delay_alu instid0(VALU_DEP_3) | instskip(SKIP_1) | instid1(VALU_DEP_4)
	v_readfirstlane_b32 s3, v8
	v_mul_lo_u16 v8, 0x157, v30
	v_and_b32_e32 v22, 0xffff, v34
	s_delay_alu instid0(VALU_DEP_4) | instskip(NEXT) | instid1(VALU_DEP_4)
	v_lshlrev_b64 v[17:18], 3, v[1:2]
	s_mul_i32 s14, s14, s3
	s_delay_alu instid0(VALU_DEP_3)
	v_sub_nc_u16 v36, v4, v8
	s_mul_hi_u32 s14, s3, s14
	v_mad_u64_u32 v[3:4], null, s0, v0, 0
	s_add_i32 s3, s3, s14
	v_mad_u64_u32 v[5:6], null, s0, v22, 0
	s_mul_hi_u32 s3, s15, s3
	v_mad_u64_u32 v[7:8], null, s0, v23, 0
	s_mul_i32 s14, s3, s8
	s_add_i32 s20, s3, 1
	s_sub_i32 s14, s15, s14
	v_and_b32_e32 v24, 0xffff, v36
	s_sub_i32 s22, s14, s8
	s_cmp_ge_u32 s14, s8
	v_mad_u64_u32 v[19:20], null, s1, v0, v[4:5]
	s_cselect_b32 s3, s20, s3
	s_cselect_b32 s14, s22, s14
	s_add_i32 s20, s3, 1
	s_cmp_ge_u32 s14, s8
	v_mad_u64_u32 v[9:10], null, s0, v24, 0
	s_cselect_b32 s14, s20, s3
	v_mad_u64_u32 v[20:21], null, s1, v22, v[6:7]
	s_mul_i32 s3, s14, s8
	v_mul_lo_u32 v1, s21, v29
	s_sub_i32 s3, s15, s3
	v_mov_b32_e32 v4, v19
	s_mul_hi_u32 s8, s3, 0x5397829d
	s_delay_alu instid0(SALU_CYCLE_1) | instskip(NEXT) | instid1(VALU_DEP_3)
	s_lshr_b32 s8, s8, 4
	v_mov_b32_e32 v6, v20
	s_mul_i32 s15, s8, 49
	v_mad_u64_u32 v[21:22], null, s1, v23, v[8:9]
	s_sub_i32 s20, s3, s15
	v_and_b32_e32 v25, 0xffff, v37
	s_add_i32 s8, s8, s20
	s_mul_i32 s20, s20, 5
	s_mul_hi_u32 s3, s8, 0xbf112a8b
	v_lshlrev_b64 v[3:4], 3, v[3:4]
	s_delay_alu instid0(VALU_DEP_3)
	v_mov_b32_e32 v8, v21
	s_lshr_b32 s3, s3, 8
	v_mad_u64_u32 v[11:12], null, s0, v25, 0
	s_mulk_i32 s3, 0x157
	v_lshlrev_b64 v[5:6], 3, v[5:6]
	s_sub_i32 s15, s8, s3
	s_mul_i32 s8, s20, s21
	s_mul_i32 s22, s15, s2
	s_lshl_b64 s[2:3], s[6:7], 3
	s_add_i32 s8, s22, s8
	s_add_u32 s6, s10, s2
	s_addc_u32 s7, s11, s3
	v_mad_u64_u32 v[22:23], null, s1, v24, v[10:11]
	s_load_b64 s[10:11], s[6:7], 0x0
	v_and_b32_e32 v41, 0xffff, v39
	v_mad_u64_u32 v[23:24], null, s1, v25, v[12:13]
	v_lshlrev_b64 v[24:25], 3, v[1:2]
	v_mul_lo_u32 v1, s21, v30
	v_mov_b32_e32 v10, v22
	v_mad_u64_u32 v[15:16], null, s0, v41, 0
	v_lshlrev_b64 v[7:8], 3, v[7:8]
	v_mov_b32_e32 v12, v23
	s_delay_alu instid0(VALU_DEP_4)
	v_lshlrev_b64 v[9:10], 3, v[9:10]
	v_lshlrev_b64 v[19:20], 3, v[1:2]
	v_mul_lo_u32 v1, s21, v31
	v_mad_u64_u32 v[26:27], null, s1, v40, v[14:15]
	v_lshlrev_b64 v[11:12], 3, v[11:12]
	v_mad_u16 v27, v39, 5, v33
	s_waitcnt lgkmcnt(0)
	s_mul_i32 s0, s11, s14
	s_mul_hi_u32 s6, s10, s14
	s_mul_i32 s10, s10, s14
	s_add_i32 s11, s6, s0
	s_add_u32 s2, s12, s2
	s_addc_u32 s3, s13, s3
	v_lshlrev_b64 v[21:22], 3, v[1:2]
	s_load_b64 s[6:7], s[2:3], 0x0
	s_lshl_b64 s[2:3], s[10:11], 3
	v_mov_b32_e32 v14, v26
	v_mad_u16 v26, v38, 5, v32
	v_and_b32_e32 v27, 0xffff, v27
	s_delay_alu instid0(VALU_DEP_2) | instskip(NEXT) | instid1(VALU_DEP_2)
	v_and_b32_e32 v26, 0xffff, v26
	v_lshl_add_u32 v27, v27, 3, 0
	s_delay_alu instid0(VALU_DEP_2)
	v_lshl_add_u32 v26, v26, 3, 0
	s_waitcnt lgkmcnt(0)
	s_mul_i32 s0, s7, s14
	s_mul_hi_u32 s7, s6, s14
	s_mul_i32 s6, s6, s14
	s_add_i32 s7, s7, s0
	s_add_u32 s0, s16, s2
	s_addc_u32 s10, s17, s3
	s_lshl_b64 s[2:3], s[8:9], 3
	s_delay_alu instid0(SALU_CYCLE_1)
	s_add_u32 s0, s0, s2
	s_addc_u32 s2, s10, s3
	v_add_co_u32 v3, vcc_lo, s0, v3
	v_add_co_ci_u32_e32 v4, vcc_lo, s2, v4, vcc_lo
	v_add_co_u32 v1, vcc_lo, s0, v5
	v_add_co_ci_u32_e32 v6, vcc_lo, s2, v6, vcc_lo
	;; [unrolled: 2-line block ×5, first 2 shown]
	v_add_co_u32 v7, vcc_lo, v7, v24
	v_mad_u64_u32 v[17:18], null, s1, v41, v[16:17]
	v_add_co_ci_u32_e32 v8, vcc_lo, v8, v25, vcc_lo
	v_add_co_u32 v9, vcc_lo, v9, v19
	v_mul_lo_u32 v1, s21, v32
	v_add_co_ci_u32_e32 v10, vcc_lo, v10, v20, vcc_lo
	v_add_co_u32 v18, vcc_lo, s0, v11
	v_mad_u16 v25, v37, 5, v31
	v_mov_b32_e32 v16, v17
	v_add_co_ci_u32_e32 v19, vcc_lo, s2, v12, vcc_lo
	v_lshlrev_b64 v[11:12], 3, v[13:14]
	s_delay_alu instid0(VALU_DEP_4)
	v_and_b32_e32 v25, 0xffff, v25
	v_add_co_u32 v13, vcc_lo, v18, v21
	v_lshlrev_b64 v[17:18], 3, v[1:2]
	v_mul_lo_u32 v1, s21, v33
	v_lshlrev_b64 v[15:16], 3, v[15:16]
	v_add_co_ci_u32_e32 v14, vcc_lo, v19, v22, vcc_lo
	v_add_co_u32 v19, vcc_lo, s0, v11
	v_add_co_ci_u32_e32 v20, vcc_lo, s2, v12, vcc_lo
	s_delay_alu instid0(VALU_DEP_4) | instskip(SKIP_4) | instid1(VALU_DEP_4)
	v_add_co_u32 v21, vcc_lo, s0, v15
	v_lshlrev_b64 v[11:12], 3, v[1:2]
	v_add_co_ci_u32_e32 v22, vcc_lo, s2, v16, vcc_lo
	v_add_co_u32 v15, vcc_lo, v19, v17
	v_add_co_ci_u32_e32 v16, vcc_lo, v20, v18, vcc_lo
	v_add_co_u32 v11, vcc_lo, v21, v11
	s_delay_alu instid0(VALU_DEP_4)
	v_add_co_ci_u32_e32 v12, vcc_lo, v22, v12, vcc_lo
	s_clause 0x6
	global_load_b64 v[17:18], v[3:4], off
	global_load_b64 v[19:20], v[5:6], off
	;; [unrolled: 1-line block ×7, first 2 shown]
	v_mul_u32_u24_e32 v1, 0x3334, v0
	v_mul_lo_u16 v3, v0, 5
	v_mad_u16 v24, v36, 5, v30
	s_load_b128 s[0:3], s[12:13], 0x0
	v_lshl_add_u32 v25, v25, 3, 0
	v_lshrrev_b32_e32 v1, 16, v1
	v_and_b32_e32 v3, 0xffff, v3
	v_and_b32_e32 v24, 0xffff, v24
	s_waitcnt lgkmcnt(0)
	s_load_b32 s3, s[12:13], 0x10
	v_mul_lo_u16 v4, v1, 5
	v_mul_lo_u16 v5, v1, 37
	v_lshl_add_u32 v21, v3, 3, 0
	v_mul_u32_u24_e32 v3, 40, v1
	v_lshl_add_u32 v24, v24, 3, 0
	v_sub_nc_u16 v4, v0, v4
	v_lshrrev_b16 v23, 8, v5
	v_mad_u16 v5, v35, 5, v29
	v_mul_u32_u24_e32 v0, 0x10c, v0
	s_delay_alu instid0(VALU_DEP_4) | instskip(SKIP_1) | instid1(VALU_DEP_4)
	v_and_b32_e32 v6, 0xffff, v4
	v_mad_u16 v4, v34, 5, v28
	v_and_b32_e32 v29, 0xffff, v5
	v_mul_lo_u16 v22, v23, 7
	v_lshrrev_b32_e32 v0, 16, v0
	v_lshlrev_b32_e32 v40, 3, v6
	v_and_b32_e32 v28, 0xffff, v4
	v_lshl_add_u32 v29, v29, 3, 0
	s_waitcnt lgkmcnt(0)
	s_mul_i32 s8, s15, s3
	v_mul_lo_u16 v0, 0x157, v0
	v_add3_u32 v3, 0, v3, v40
	v_lshl_add_u32 v28, v28, 3, 0
	s_waitcnt vmcnt(6)
	ds_store_b64 v21, v[17:18]
	s_waitcnt vmcnt(5)
	ds_store_b64 v28, v[19:20]
	;; [unrolled: 2-line block ×7, first 2 shown]
	s_waitcnt lgkmcnt(0)
	s_barrier
	buffer_gl0_inv
	ds_load_2addr_b64 v[7:10], v3 offset1:245
	ds_load_b64 v[19:20], v3 offset:11760
	v_sub_nc_u16 v21, v1, v22
	v_add_nc_u32_e32 v5, 0xf00, v3
	v_mad_u32_u24 v22, 0xf0, v1, v3
	v_and_b32_e32 v0, 0xffff, v0
	s_waitcnt lgkmcnt(0)
	v_dual_add_f32 v24, v9, v19 :: v_dual_and_b32 v31, 0xff, v21
	v_sub_f32_e32 v9, v9, v19
	v_add_nc_u32_e32 v4, 0x1e80, v3
	ds_load_2addr_b64 v[11:14], v5 offset0:10 offset1:255
	ds_load_2addr_b64 v[15:18], v4 offset0:4 offset1:249
	v_mul_u32_u24_e32 v21, 6, v31
	v_add_f32_e32 v25, v10, v20
	v_sub_f32_e32 v10, v10, v20
	s_waitcnt lgkmcnt(0)
	s_barrier
	v_lshlrev_b32_e32 v21, 3, v21
	buffer_gl0_inv
	v_add_f32_e32 v19, v11, v17
	v_sub_f32_e32 v11, v11, v17
	v_add_f32_e32 v17, v13, v15
	v_dual_sub_f32 v13, v15, v13 :: v_dual_add_f32 v20, v12, v18
	s_delay_alu instid0(VALU_DEP_4) | instskip(SKIP_3) | instid1(VALU_DEP_4)
	v_dual_sub_f32 v12, v12, v18 :: v_dual_add_f32 v15, v19, v24
	v_add_f32_e32 v18, v14, v16
	v_sub_f32_e32 v26, v19, v24
	v_sub_f32_e32 v24, v24, v17
	v_dual_sub_f32 v14, v16, v14 :: v_dual_add_f32 v15, v17, v15
	v_add_f32_e32 v16, v20, v25
	v_sub_f32_e32 v27, v20, v25
	v_sub_f32_e32 v25, v25, v18
	v_dual_sub_f32 v19, v17, v19 :: v_dual_sub_f32 v20, v18, v20
	v_add_f32_e32 v7, v15, v7
	v_dual_sub_f32 v30, v13, v11 :: v_dual_mul_f32 v17, 0x3f4a47b2, v24
	v_dual_add_f32 v28, v13, v11 :: v_dual_add_f32 v29, v14, v12
	v_dual_sub_f32 v32, v14, v12 :: v_dual_sub_f32 v13, v9, v13
	v_dual_sub_f32 v14, v10, v14 :: v_dual_sub_f32 v11, v11, v9
	s_delay_alu instid0(VALU_DEP_4)
	v_dual_mul_f32 v24, 0x3d64c772, v19 :: v_dual_fmamk_f32 v19, v19, 0x3d64c772, v17
	v_sub_f32_e32 v12, v12, v10
	v_dual_add_f32 v9, v28, v9 :: v_dual_add_f32 v10, v29, v10
	v_add_f32_e32 v16, v18, v16
	v_mul_f32_e32 v18, 0x3f4a47b2, v25
	v_mul_f32_e32 v25, 0x3d64c772, v20
	v_dual_mul_f32 v28, 0x3f08b237, v30 :: v_dual_mul_f32 v29, 0x3f08b237, v32
	v_mul_f32_e32 v30, 0xbf5ff5aa, v11
	s_delay_alu instid0(VALU_DEP_4) | instskip(NEXT) | instid1(VALU_DEP_4)
	v_fmamk_f32 v20, v20, 0x3d64c772, v18
	v_fma_f32 v25, 0x3f3bfb3b, v27, -v25
	v_fma_f32 v18, 0xbf3bfb3b, v27, -v18
	v_fmamk_f32 v27, v14, 0xbeae86e6, v29
	v_fma_f32 v24, 0x3f3bfb3b, v26, -v24
	v_fma_f32 v17, 0xbf3bfb3b, v26, -v17
	v_fmamk_f32 v26, v13, 0xbeae86e6, v28
	v_fma_f32 v28, 0xbf5ff5aa, v11, -v28
	v_mov_b32_e32 v11, v7
	v_fma_f32 v30, 0x3eae86e6, v13, -v30
	s_delay_alu instid0(VALU_DEP_4) | instskip(NEXT) | instid1(VALU_DEP_4)
	v_fmac_f32_e32 v26, 0xbee1c552, v9
	v_fmac_f32_e32 v28, 0xbee1c552, v9
	s_delay_alu instid0(VALU_DEP_4) | instskip(NEXT) | instid1(VALU_DEP_1)
	v_fmac_f32_e32 v11, 0xbf955555, v15
	v_dual_fmac_f32 v30, 0xbee1c552, v9 :: v_dual_add_f32 v19, v19, v11
	v_fma_f32 v29, 0xbf5ff5aa, v12, -v29
	v_add_f32_e32 v15, v24, v11
	v_fmac_f32_e32 v27, 0xbee1c552, v10
	v_add_f32_e32 v17, v17, v11
	s_delay_alu instid0(VALU_DEP_4) | instskip(SKIP_1) | instid1(VALU_DEP_4)
	v_fmac_f32_e32 v29, 0xbee1c552, v10
	v_mul_f32_e32 v32, 0xbf5ff5aa, v12
	v_dual_add_f32 v8, v16, v8 :: v_dual_add_f32 v9, v19, v27
	v_sub_f32_e32 v19, v19, v27
	s_delay_alu instid0(VALU_DEP_4) | instskip(SKIP_3) | instid1(VALU_DEP_2)
	v_sub_f32_e32 v13, v15, v29
	v_add_f32_e32 v15, v29, v15
	v_fma_f32 v32, 0x3eae86e6, v14, -v32
	v_mov_b32_e32 v12, v8
	v_fmac_f32_e32 v32, 0xbee1c552, v10
	s_delay_alu instid0(VALU_DEP_1) | instskip(SKIP_1) | instid1(VALU_DEP_2)
	v_dual_fmac_f32 v12, 0xbf955555, v16 :: v_dual_add_f32 v11, v32, v17
	v_sub_f32_e32 v17, v17, v32
	v_add_f32_e32 v20, v20, v12
	v_add_f32_e32 v18, v18, v12
	;; [unrolled: 1-line block ×3, first 2 shown]
	v_and_b32_e32 v32, 0xffff, v23
	s_delay_alu instid0(VALU_DEP_4) | instskip(NEXT) | instid1(VALU_DEP_4)
	v_sub_f32_e32 v10, v20, v26
	v_sub_f32_e32 v12, v18, v30
	s_delay_alu instid0(VALU_DEP_4)
	v_add_f32_e32 v14, v28, v16
	v_sub_f32_e32 v16, v16, v28
	v_add_f32_e32 v18, v30, v18
	v_add_f32_e32 v20, v26, v20
	ds_store_2addr_b64 v22, v[7:8], v[9:10] offset1:5
	ds_store_2addr_b64 v22, v[11:12], v[13:14] offset0:10 offset1:15
	ds_store_2addr_b64 v22, v[15:16], v[17:18] offset0:20 offset1:25
	ds_store_b64 v22, v[19:20] offset:240
	s_waitcnt lgkmcnt(0)
	s_barrier
	buffer_gl0_inv
	s_clause 0x2
	global_load_b128 v[7:10], v21, s[4:5]
	global_load_b128 v[11:14], v21, s[4:5] offset:16
	global_load_b128 v[15:18], v21, s[4:5] offset:32
	v_mul_lo_u16 v19, v1, 21
	ds_load_2addr_b64 v[23:26], v5 offset0:10 offset1:255
	ds_load_2addr_b64 v[27:30], v4 offset0:4 offset1:249
	v_mad_u32_u24 v33, v32, 49, v31
	ds_load_b64 v[31:32], v3 offset:11760
	v_lshrrev_b16 v19, 10, v19
	v_mul_u32_u24_e32 v33, 40, v33
	s_delay_alu instid0(VALU_DEP_2) | instskip(NEXT) | instid1(VALU_DEP_2)
	v_mul_lo_u16 v19, v19, 49
	v_add3_u32 v33, 0, v33, v40
	s_delay_alu instid0(VALU_DEP_2)
	v_sub_nc_u16 v1, v1, v19
	ds_load_2addr_b64 v[19:22], v3 offset1:245
	s_waitcnt vmcnt(0) lgkmcnt(0)
	s_barrier
	buffer_gl0_inv
	v_and_b32_e32 v1, 0xff, v1
	s_delay_alu instid0(VALU_DEP_1) | instskip(SKIP_1) | instid1(VALU_DEP_1)
	v_mul_u32_u24_e32 v34, 6, v1
	v_add_nc_u32_e32 v0, v1, v0
	v_mul_lo_u32 v1, v0, s2
	s_mul_i32 s2, s2, 49
	v_mul_f32_e32 v35, v8, v22
	v_dual_mul_f32 v37, v12, v26 :: v_dual_mul_f32 v38, v14, v28
	v_mul_f32_e32 v8, v8, v21
	v_mul_f32_e32 v12, v12, v25
	;; [unrolled: 1-line block ×3, first 2 shown]
	s_delay_alu instid0(VALU_DEP_4)
	v_dual_fmac_f32 v37, v11, v25 :: v_dual_fmac_f32 v38, v13, v27
	v_mul_f32_e32 v16, v16, v29
	v_fmac_f32_e32 v35, v7, v21
	v_fma_f32 v7, v7, v22, -v8
	v_mul_f32_e32 v14, v14, v27
	v_sub_f32_e32 v21, v38, v37
	v_mul_f32_e32 v36, v10, v24
	v_dual_mul_f32 v10, v10, v23 :: v_dual_fmac_f32 v39, v15, v29
	s_delay_alu instid0(VALU_DEP_2) | instskip(NEXT) | instid1(VALU_DEP_2)
	v_fmac_f32_e32 v36, v9, v23
	v_fma_f32 v8, v9, v24, -v10
	v_fma_f32 v9, v11, v26, -v12
	;; [unrolled: 1-line block ×4, first 2 shown]
	s_delay_alu instid0(VALU_DEP_2) | instskip(SKIP_4) | instid1(VALU_DEP_2)
	v_add_f32_e32 v16, v8, v12
	v_sub_f32_e32 v8, v8, v12
	v_add_f32_e32 v12, v37, v38
	v_mul_f32_e32 v40, v18, v32
	v_mul_f32_e32 v18, v18, v31
	v_fmac_f32_e32 v40, v17, v31
	s_delay_alu instid0(VALU_DEP_2) | instskip(SKIP_2) | instid1(VALU_DEP_4)
	v_fma_f32 v10, v17, v32, -v18
	v_sub_f32_e32 v17, v36, v39
	v_add_f32_e32 v18, v9, v11
	v_dual_sub_f32 v15, v35, v40 :: v_dual_lshlrev_b32 v34, 3, v34
	s_delay_alu instid0(VALU_DEP_3) | instskip(SKIP_2) | instid1(VALU_DEP_3)
	v_dual_add_f32 v14, v7, v10 :: v_dual_add_f32 v25, v21, v17
	v_add_f32_e32 v13, v35, v40
	v_dual_sub_f32 v7, v7, v10 :: v_dual_add_f32 v10, v36, v39
	v_dual_sub_f32 v9, v11, v9 :: v_dual_sub_f32 v24, v16, v14
	v_sub_f32_e32 v27, v21, v17
	v_sub_f32_e32 v21, v15, v21
	;; [unrolled: 1-line block ×3, first 2 shown]
	v_dual_add_f32 v15, v25, v15 :: v_dual_add_f32 v22, v16, v14
	v_sub_f32_e32 v14, v14, v18
	v_add_f32_e32 v11, v10, v13
	v_sub_f32_e32 v16, v18, v16
	v_dual_add_f32 v26, v9, v8 :: v_dual_sub_f32 v23, v10, v13
	s_delay_alu instid0(VALU_DEP_4) | instskip(SKIP_2) | instid1(VALU_DEP_4)
	v_dual_mul_f32 v14, 0x3f4a47b2, v14 :: v_dual_sub_f32 v13, v13, v12
	v_sub_f32_e32 v10, v12, v10
	v_dual_add_f32 v11, v12, v11 :: v_dual_add_f32 v12, v18, v22
	v_dual_add_f32 v18, v26, v7 :: v_dual_mul_f32 v25, 0x3d64c772, v16
	v_mul_f32_e32 v26, 0x3f08b237, v27
	v_fmamk_f32 v16, v16, 0x3d64c772, v14
	v_fma_f32 v14, 0xbf3bfb3b, v24, -v14
	v_dual_sub_f32 v28, v9, v8 :: v_dual_sub_f32 v9, v7, v9
	v_mul_f32_e32 v13, 0x3f4a47b2, v13
	v_mul_f32_e32 v22, 0x3d64c772, v10
	s_delay_alu instid0(VALU_DEP_3) | instskip(SKIP_4) | instid1(VALU_DEP_3)
	v_mul_f32_e32 v27, 0x3f08b237, v28
	v_mul_f32_e32 v28, 0xbf5ff5aa, v17
	v_fma_f32 v17, 0xbf5ff5aa, v17, -v26
	v_fmamk_f32 v10, v10, 0x3d64c772, v13
	v_fma_f32 v13, 0xbf3bfb3b, v23, -v13
	v_fmac_f32_e32 v17, 0xbee1c552, v15
	v_sub_f32_e32 v29, v8, v7
	v_dual_add_f32 v7, v11, v19 :: v_dual_add_f32 v8, v12, v20
	v_fma_f32 v19, 0x3f3bfb3b, v23, -v22
	v_fma_f32 v20, 0x3f3bfb3b, v24, -v25
	s_delay_alu instid0(VALU_DEP_4) | instskip(SKIP_3) | instid1(VALU_DEP_4)
	v_mul_f32_e32 v30, 0xbf5ff5aa, v29
	v_fmamk_f32 v22, v21, 0xbeae86e6, v26
	v_dual_fmamk_f32 v23, v9, 0xbeae86e6, v27 :: v_dual_mov_b32 v26, v8
	v_fma_f32 v24, 0xbf5ff5aa, v29, -v27
	v_fma_f32 v25, 0x3eae86e6, v9, -v30
	v_mov_b32_e32 v9, v7
	v_fma_f32 v21, 0x3eae86e6, v21, -v28
	v_fmac_f32_e32 v26, 0xbf955555, v12
	v_dual_fmac_f32 v22, 0xbee1c552, v15 :: v_dual_fmac_f32 v23, 0xbee1c552, v18
	s_delay_alu instid0(VALU_DEP_4) | instskip(SKIP_1) | instid1(VALU_DEP_4)
	v_fmac_f32_e32 v9, 0xbf955555, v11
	v_fmac_f32_e32 v24, 0xbee1c552, v18
	v_dual_add_f32 v28, v16, v26 :: v_dual_fmac_f32 v21, 0xbee1c552, v15
	v_fmac_f32_e32 v25, 0xbee1c552, v18
	s_delay_alu instid0(VALU_DEP_4) | instskip(SKIP_2) | instid1(VALU_DEP_3)
	v_add_f32_e32 v27, v10, v9
	v_add_f32_e32 v15, v19, v9
	v_dual_add_f32 v18, v13, v9 :: v_dual_add_f32 v19, v14, v26
	v_dual_add_f32 v16, v20, v26 :: v_dual_add_f32 v9, v23, v27
	v_sub_f32_e32 v10, v28, v22
	s_delay_alu instid0(VALU_DEP_3) | instskip(SKIP_1) | instid1(VALU_DEP_4)
	v_dual_add_f32 v11, v25, v18 :: v_dual_sub_f32 v12, v19, v21
	v_sub_f32_e32 v13, v15, v24
	v_dual_add_f32 v14, v17, v16 :: v_dual_add_f32 v15, v24, v15
	v_sub_f32_e32 v16, v16, v17
	v_dual_sub_f32 v17, v18, v25 :: v_dual_add_f32 v18, v21, v19
	v_dual_sub_f32 v19, v27, v23 :: v_dual_add_f32 v20, v22, v28
	ds_store_2addr_b64 v33, v[7:8], v[9:10] offset1:35
	ds_store_2addr_b64 v33, v[11:12], v[13:14] offset0:70 offset1:105
	ds_store_2addr_b64 v33, v[15:16], v[17:18] offset0:140 offset1:175
	ds_store_b64 v33, v[19:20] offset:1680
	s_waitcnt lgkmcnt(0)
	s_barrier
	buffer_gl0_inv
	s_clause 0x2
	global_load_b128 v[7:10], v34, s[4:5] offset:336
	global_load_b128 v[11:14], v34, s[4:5] offset:352
	;; [unrolled: 1-line block ×3, first 2 shown]
	v_add_co_u32 v0, s4, s20, v6
	s_delay_alu instid0(VALU_DEP_1) | instskip(SKIP_1) | instid1(VALU_DEP_3)
	v_add_co_ci_u32_e64 v6, null, 0, 0, s4
	v_lshlrev_b64 v[19:20], 3, v[1:2]
	v_mul_lo_u32 v29, v0, s1
	v_mad_u64_u32 v[25:26], null, v0, s0, 0
	s_delay_alu instid0(VALU_DEP_4) | instskip(SKIP_2) | instid1(SALU_CYCLE_1)
	v_mul_lo_u32 v6, v6, s0
	v_add_nc_u32_e32 v1, s2, v1
	s_lshl_b64 s[0:1], s[6:7], 3
	s_add_u32 s3, s18, s0
	s_addc_u32 s4, s19, s1
	s_delay_alu instid0(VALU_DEP_1) | instskip(SKIP_1) | instid1(VALU_DEP_4)
	v_lshlrev_b64 v[21:22], 3, v[1:2]
	v_add_nc_u32_e32 v1, s2, v1
	v_add3_u32 v26, v26, v29, v6
	s_lshl_b64 s[0:1], s[8:9], 3
	s_delay_alu instid0(SALU_CYCLE_1) | instskip(NEXT) | instid1(VALU_DEP_2)
	s_add_u32 s0, s3, s0
	v_lshlrev_b64 v[23:24], 3, v[1:2]
	s_delay_alu instid0(VALU_DEP_2) | instskip(SKIP_2) | instid1(VALU_DEP_2)
	v_lshlrev_b64 v[25:26], 3, v[25:26]
	v_add_nc_u32_e32 v1, s2, v1
	s_addc_u32 s1, s4, s1
	v_add_co_u32 v41, vcc_lo, s0, v25
	s_delay_alu instid0(VALU_DEP_2) | instskip(SKIP_2) | instid1(VALU_DEP_4)
	v_lshlrev_b64 v[27:28], 3, v[1:2]
	v_add_nc_u32_e32 v1, s2, v1
	v_add_co_ci_u32_e32 v42, vcc_lo, s1, v26, vcc_lo
	v_add_co_u32 v35, vcc_lo, v41, v19
	s_delay_alu instid0(VALU_DEP_3) | instskip(SKIP_1) | instid1(VALU_DEP_4)
	v_lshlrev_b64 v[31:32], 3, v[1:2]
	v_add_nc_u32_e32 v1, s2, v1
	v_add_co_ci_u32_e32 v36, vcc_lo, v42, v20, vcc_lo
	v_add_co_u32 v37, vcc_lo, v41, v21
	v_add_co_ci_u32_e32 v38, vcc_lo, v42, v22, vcc_lo
	s_delay_alu instid0(VALU_DEP_4)
	v_lshlrev_b64 v[33:34], 3, v[1:2]
	v_add_nc_u32_e32 v1, s2, v1
	v_add_co_u32 v39, vcc_lo, v41, v23
	v_add_co_ci_u32_e32 v40, vcc_lo, v42, v24, vcc_lo
	ds_load_2addr_b64 v[19:22], v3 offset1:245
	ds_load_2addr_b64 v[23:26], v5 offset0:10 offset1:255
	v_add_co_u32 v5, vcc_lo, v41, v27
	v_lshlrev_b64 v[0:1], 3, v[1:2]
	v_add_co_ci_u32_e32 v6, vcc_lo, v42, v28, vcc_lo
	ds_load_2addr_b64 v[27:30], v4 offset0:4 offset1:249
	ds_load_b64 v[2:3], v3 offset:11760
	v_add_co_u32 v31, vcc_lo, v41, v31
	v_add_co_ci_u32_e32 v32, vcc_lo, v42, v32, vcc_lo
	v_add_co_u32 v33, vcc_lo, v41, v33
	v_add_co_ci_u32_e32 v34, vcc_lo, v42, v34, vcc_lo
	;; [unrolled: 2-line block ×3, first 2 shown]
	s_waitcnt vmcnt(2) lgkmcnt(3)
	v_mul_f32_e32 v4, v8, v22
	s_waitcnt lgkmcnt(2)
	v_dual_mul_f32 v8, v8, v21 :: v_dual_mul_f32 v41, v10, v24
	v_mul_f32_e32 v10, v10, v23
	s_waitcnt vmcnt(0) lgkmcnt(1)
	v_mul_f32_e32 v44, v16, v30
	v_dual_mul_f32 v16, v16, v29 :: v_dual_mul_f32 v43, v14, v28
	v_mul_f32_e32 v14, v14, v27
	s_waitcnt lgkmcnt(0)
	v_mul_f32_e32 v45, v18, v3
	v_mul_f32_e32 v18, v18, v2
	v_fmac_f32_e32 v4, v7, v21
	v_fma_f32 v7, v7, v22, -v8
	v_fma_f32 v8, v9, v24, -v10
	;; [unrolled: 1-line block ×3, first 2 shown]
	v_fmac_f32_e32 v43, v13, v27
	v_fmac_f32_e32 v45, v17, v2
	v_fma_f32 v2, v17, v3, -v18
	v_fma_f32 v3, v13, v28, -v14
	v_add_f32_e32 v13, v8, v10
	v_sub_f32_e32 v8, v8, v10
	v_dual_mul_f32 v42, v12, v26 :: v_dual_fmac_f32 v41, v9, v23
	v_fmac_f32_e32 v44, v15, v29
	s_delay_alu instid0(VALU_DEP_2) | instskip(NEXT) | instid1(VALU_DEP_2)
	v_fmac_f32_e32 v42, v11, v25
	v_sub_f32_e32 v14, v41, v44
	s_delay_alu instid0(VALU_DEP_2) | instskip(SKIP_1) | instid1(VALU_DEP_2)
	v_sub_f32_e32 v16, v43, v42
	v_add_f32_e32 v10, v42, v43
	v_sub_f32_e32 v24, v16, v14
	v_mul_f32_e32 v12, v12, v25
	v_add_f32_e32 v22, v16, v14
	s_delay_alu instid0(VALU_DEP_2) | instskip(SKIP_1) | instid1(VALU_DEP_2)
	v_fma_f32 v9, v11, v26, -v12
	v_dual_add_f32 v12, v7, v2 :: v_dual_add_f32 v11, v4, v45
	v_add_f32_e32 v15, v9, v3
	s_delay_alu instid0(VALU_DEP_2) | instskip(SKIP_1) | instid1(VALU_DEP_3)
	v_add_f32_e32 v17, v13, v12
	v_sub_f32_e32 v21, v13, v12
	v_dual_sub_f32 v3, v3, v9 :: v_dual_sub_f32 v12, v12, v15
	v_sub_f32_e32 v13, v15, v13
	s_delay_alu instid0(VALU_DEP_2) | instskip(SKIP_1) | instid1(VALU_DEP_4)
	v_add_f32_e32 v23, v3, v8
	v_sub_f32_e32 v25, v3, v8
	v_mul_f32_e32 v12, 0x3f4a47b2, v12
	v_sub_f32_e32 v4, v4, v45
	s_delay_alu instid0(VALU_DEP_1)
	v_sub_f32_e32 v16, v4, v16
	v_sub_f32_e32 v14, v14, v4
	v_add_f32_e32 v4, v22, v4
	v_dual_mul_f32 v22, 0x3d64c772, v13 :: v_dual_fmamk_f32 v13, v13, 0x3d64c772, v12
	v_fma_f32 v12, 0xbf3bfb3b, v21, -v12
	v_dual_sub_f32 v2, v7, v2 :: v_dual_add_f32 v7, v41, v44
	s_delay_alu instid0(VALU_DEP_1)
	v_dual_sub_f32 v8, v8, v2 :: v_dual_add_f32 v9, v7, v11
	v_sub_f32_e32 v18, v7, v11
	v_sub_f32_e32 v11, v11, v10
	;; [unrolled: 1-line block ×4, first 2 shown]
	v_add_f32_e32 v9, v10, v9
	v_add_f32_e32 v10, v15, v17
	;; [unrolled: 1-line block ×3, first 2 shown]
	v_mul_f32_e32 v11, 0x3f4a47b2, v11
	v_mul_f32_e32 v17, 0x3d64c772, v7
	v_dual_mul_f32 v23, 0x3f08b237, v24 :: v_dual_mul_f32 v24, 0x3f08b237, v25
	v_dual_mul_f32 v25, 0xbf5ff5aa, v14 :: v_dual_add_f32 v2, v9, v19
	v_add_f32_e32 v3, v10, v20
	v_mul_f32_e32 v27, 0xbf5ff5aa, v8
	v_fmamk_f32 v7, v7, 0x3d64c772, v11
	v_fma_f32 v17, 0x3f3bfb3b, v18, -v17
	v_fma_f32 v19, 0x3f3bfb3b, v21, -v22
	;; [unrolled: 1-line block ×3, first 2 shown]
	v_fmamk_f32 v18, v16, 0xbeae86e6, v23
	v_fmamk_f32 v20, v26, 0xbeae86e6, v24
	v_fma_f32 v14, 0xbf5ff5aa, v14, -v23
	v_fma_f32 v21, 0xbf5ff5aa, v8, -v24
	;; [unrolled: 1-line block ×3, first 2 shown]
	v_dual_fmamk_f32 v8, v9, 0xbf955555, v2 :: v_dual_fmamk_f32 v9, v10, 0xbf955555, v3
	v_fma_f32 v22, 0x3eae86e6, v26, -v27
	v_fmac_f32_e32 v18, 0xbee1c552, v4
	v_fmac_f32_e32 v20, 0xbee1c552, v15
	;; [unrolled: 1-line block ×4, first 2 shown]
	v_dual_add_f32 v4, v7, v8 :: v_dual_add_f32 v23, v13, v9
	v_fmac_f32_e32 v21, 0xbee1c552, v15
	v_dual_fmac_f32 v22, 0xbee1c552, v15 :: v_dual_add_f32 v13, v17, v8
	v_add_f32_e32 v15, v11, v8
	v_add_f32_e32 v17, v12, v9
	;; [unrolled: 1-line block ×3, first 2 shown]
	global_store_b64 v[35:36], v[2:3], off
	v_dual_add_f32 v2, v20, v4 :: v_dual_sub_f32 v3, v23, v18
	v_dual_add_f32 v7, v22, v15 :: v_dual_sub_f32 v8, v17, v16
	v_dual_sub_f32 v9, v13, v21 :: v_dual_add_f32 v10, v14, v12
	v_dual_add_f32 v11, v21, v13 :: v_dual_sub_f32 v12, v12, v14
	v_sub_f32_e32 v13, v15, v22
	v_sub_f32_e32 v15, v4, v20
	v_add_f32_e32 v14, v16, v17
	v_add_f32_e32 v16, v18, v23
	s_clause 0x5
	global_store_b64 v[37:38], v[2:3], off
	global_store_b64 v[39:40], v[7:8], off
	;; [unrolled: 1-line block ×6, first 2 shown]
	s_nop 0
	s_sendmsg sendmsg(MSG_DEALLOC_VGPRS)
	s_endpgm
	.section	.rodata,"a",@progbits
	.p2align	6, 0x0
	.amdhsa_kernel fft_rtc_back_len343_factors_7_7_7_wgs_245_tpt_49_sp_op_CI_CI_sbrc_xy_z_diag_dirReg
		.amdhsa_group_segment_fixed_size 0
		.amdhsa_private_segment_fixed_size 0
		.amdhsa_kernarg_size 104
		.amdhsa_user_sgpr_count 15
		.amdhsa_user_sgpr_dispatch_ptr 0
		.amdhsa_user_sgpr_queue_ptr 0
		.amdhsa_user_sgpr_kernarg_segment_ptr 1
		.amdhsa_user_sgpr_dispatch_id 0
		.amdhsa_user_sgpr_private_segment_size 0
		.amdhsa_wavefront_size32 1
		.amdhsa_uses_dynamic_stack 0
		.amdhsa_enable_private_segment 0
		.amdhsa_system_sgpr_workgroup_id_x 1
		.amdhsa_system_sgpr_workgroup_id_y 0
		.amdhsa_system_sgpr_workgroup_id_z 0
		.amdhsa_system_sgpr_workgroup_info 0
		.amdhsa_system_vgpr_workitem_id 0
		.amdhsa_next_free_vgpr 46
		.amdhsa_next_free_sgpr 24
		.amdhsa_reserve_vcc 1
		.amdhsa_float_round_mode_32 0
		.amdhsa_float_round_mode_16_64 0
		.amdhsa_float_denorm_mode_32 3
		.amdhsa_float_denorm_mode_16_64 3
		.amdhsa_dx10_clamp 1
		.amdhsa_ieee_mode 1
		.amdhsa_fp16_overflow 0
		.amdhsa_workgroup_processor_mode 1
		.amdhsa_memory_ordered 1
		.amdhsa_forward_progress 0
		.amdhsa_shared_vgpr_count 0
		.amdhsa_exception_fp_ieee_invalid_op 0
		.amdhsa_exception_fp_denorm_src 0
		.amdhsa_exception_fp_ieee_div_zero 0
		.amdhsa_exception_fp_ieee_overflow 0
		.amdhsa_exception_fp_ieee_underflow 0
		.amdhsa_exception_fp_ieee_inexact 0
		.amdhsa_exception_int_div_zero 0
	.end_amdhsa_kernel
	.text
.Lfunc_end0:
	.size	fft_rtc_back_len343_factors_7_7_7_wgs_245_tpt_49_sp_op_CI_CI_sbrc_xy_z_diag_dirReg, .Lfunc_end0-fft_rtc_back_len343_factors_7_7_7_wgs_245_tpt_49_sp_op_CI_CI_sbrc_xy_z_diag_dirReg
                                        ; -- End function
	.section	.AMDGPU.csdata,"",@progbits
; Kernel info:
; codeLenInByte = 4260
; NumSgprs: 26
; NumVgprs: 46
; ScratchSize: 0
; MemoryBound: 0
; FloatMode: 240
; IeeeMode: 1
; LDSByteSize: 0 bytes/workgroup (compile time only)
; SGPRBlocks: 3
; VGPRBlocks: 5
; NumSGPRsForWavesPerEU: 26
; NumVGPRsForWavesPerEU: 46
; Occupancy: 16
; WaveLimiterHint : 1
; COMPUTE_PGM_RSRC2:SCRATCH_EN: 0
; COMPUTE_PGM_RSRC2:USER_SGPR: 15
; COMPUTE_PGM_RSRC2:TRAP_HANDLER: 0
; COMPUTE_PGM_RSRC2:TGID_X_EN: 1
; COMPUTE_PGM_RSRC2:TGID_Y_EN: 0
; COMPUTE_PGM_RSRC2:TGID_Z_EN: 0
; COMPUTE_PGM_RSRC2:TIDIG_COMP_CNT: 0
	.text
	.p2alignl 7, 3214868480
	.fill 96, 4, 3214868480
	.type	__hip_cuid_1865f36040678de4,@object ; @__hip_cuid_1865f36040678de4
	.section	.bss,"aw",@nobits
	.globl	__hip_cuid_1865f36040678de4
__hip_cuid_1865f36040678de4:
	.byte	0                               ; 0x0
	.size	__hip_cuid_1865f36040678de4, 1

	.ident	"AMD clang version 19.0.0git (https://github.com/RadeonOpenCompute/llvm-project roc-6.4.0 25133 c7fe45cf4b819c5991fe208aaa96edf142730f1d)"
	.section	".note.GNU-stack","",@progbits
	.addrsig
	.addrsig_sym __hip_cuid_1865f36040678de4
	.amdgpu_metadata
---
amdhsa.kernels:
  - .args:
      - .actual_access:  read_only
        .address_space:  global
        .offset:         0
        .size:           8
        .value_kind:     global_buffer
      - .offset:         8
        .size:           8
        .value_kind:     by_value
      - .actual_access:  read_only
        .address_space:  global
        .offset:         16
        .size:           8
        .value_kind:     global_buffer
      - .actual_access:  read_only
        .address_space:  global
        .offset:         24
        .size:           8
        .value_kind:     global_buffer
      - .actual_access:  read_only
        .address_space:  global
        .offset:         32
        .size:           8
        .value_kind:     global_buffer
      - .offset:         40
        .size:           8
        .value_kind:     by_value
      - .actual_access:  read_only
        .address_space:  global
        .offset:         48
        .size:           8
        .value_kind:     global_buffer
      - .actual_access:  read_only
        .address_space:  global
        .offset:         56
        .size:           8
        .value_kind:     global_buffer
      - .offset:         64
        .size:           4
        .value_kind:     by_value
      - .actual_access:  read_only
        .address_space:  global
        .offset:         72
        .size:           8
        .value_kind:     global_buffer
      - .actual_access:  read_only
        .address_space:  global
        .offset:         80
        .size:           8
        .value_kind:     global_buffer
      - .actual_access:  read_only
        .address_space:  global
        .offset:         88
        .size:           8
        .value_kind:     global_buffer
      - .actual_access:  write_only
        .address_space:  global
        .offset:         96
        .size:           8
        .value_kind:     global_buffer
    .group_segment_fixed_size: 0
    .kernarg_segment_align: 8
    .kernarg_segment_size: 104
    .language:       OpenCL C
    .language_version:
      - 2
      - 0
    .max_flat_workgroup_size: 245
    .name:           fft_rtc_back_len343_factors_7_7_7_wgs_245_tpt_49_sp_op_CI_CI_sbrc_xy_z_diag_dirReg
    .private_segment_fixed_size: 0
    .sgpr_count:     26
    .sgpr_spill_count: 0
    .symbol:         fft_rtc_back_len343_factors_7_7_7_wgs_245_tpt_49_sp_op_CI_CI_sbrc_xy_z_diag_dirReg.kd
    .uniform_work_group_size: 1
    .uses_dynamic_stack: false
    .vgpr_count:     46
    .vgpr_spill_count: 0
    .wavefront_size: 32
    .workgroup_processor_mode: 1
amdhsa.target:   amdgcn-amd-amdhsa--gfx1100
amdhsa.version:
  - 1
  - 2
...

	.end_amdgpu_metadata
